;; amdgpu-corpus repo=ROCm/rocFFT kind=compiled arch=gfx950 opt=O3
	.text
	.amdgcn_target "amdgcn-amd-amdhsa--gfx950"
	.amdhsa_code_object_version 6
	.protected	fft_rtc_fwd_len448_factors_8_7_8_wgs_128_tpt_64_dp_op_CI_CI_unitstride_sbrr_C2R_dirReg ; -- Begin function fft_rtc_fwd_len448_factors_8_7_8_wgs_128_tpt_64_dp_op_CI_CI_unitstride_sbrr_C2R_dirReg
	.globl	fft_rtc_fwd_len448_factors_8_7_8_wgs_128_tpt_64_dp_op_CI_CI_unitstride_sbrr_C2R_dirReg
	.p2align	8
	.type	fft_rtc_fwd_len448_factors_8_7_8_wgs_128_tpt_64_dp_op_CI_CI_unitstride_sbrr_C2R_dirReg,@function
fft_rtc_fwd_len448_factors_8_7_8_wgs_128_tpt_64_dp_op_CI_CI_unitstride_sbrr_C2R_dirReg: ; @fft_rtc_fwd_len448_factors_8_7_8_wgs_128_tpt_64_dp_op_CI_CI_unitstride_sbrr_C2R_dirReg
; %bb.0:
	s_load_dwordx4 s[4:7], s[0:1], 0x58
	s_load_dwordx4 s[8:11], s[0:1], 0x0
	;; [unrolled: 1-line block ×3, first 2 shown]
	v_lshrrev_b32_e32 v1, 6, v0
	v_lshl_or_b32 v6, s2, 1, v1
	v_mov_b32_e32 v4, 0
	s_waitcnt lgkmcnt(0)
	v_cmp_lt_u64_e64 s[2:3], s[10:11], 2
	v_mov_b32_e32 v7, v4
	s_and_b64 vcc, exec, s[2:3]
	v_mov_b64_e32 v[2:3], 0
	s_cbranch_vccnz .LBB0_8
; %bb.1:
	s_load_dwordx2 s[2:3], s[0:1], 0x10
	s_add_u32 s16, s14, 8
	s_addc_u32 s17, s15, 0
	s_add_u32 s18, s12, 8
	s_addc_u32 s19, s13, 0
	s_waitcnt lgkmcnt(0)
	s_add_u32 s20, s2, 8
	v_mov_b64_e32 v[2:3], 0
	s_addc_u32 s21, s3, 0
	s_mov_b64 s[22:23], 1
	v_mov_b64_e32 v[34:35], v[2:3]
.LBB0_2:                                ; =>This Inner Loop Header: Depth=1
	s_load_dwordx2 s[24:25], s[20:21], 0x0
                                        ; implicit-def: $vgpr36_vgpr37
	s_waitcnt lgkmcnt(0)
	v_or_b32_e32 v5, s25, v7
	v_cmp_ne_u64_e32 vcc, 0, v[4:5]
	s_and_saveexec_b64 s[2:3], vcc
	s_xor_b64 s[26:27], exec, s[2:3]
	s_cbranch_execz .LBB0_4
; %bb.3:                                ;   in Loop: Header=BB0_2 Depth=1
	v_cvt_f32_u32_e32 v1, s24
	v_cvt_f32_u32_e32 v5, s25
	s_sub_u32 s2, 0, s24
	s_subb_u32 s3, 0, s25
	v_fmac_f32_e32 v1, 0x4f800000, v5
	v_rcp_f32_e32 v1, v1
	s_nop 0
	v_mul_f32_e32 v1, 0x5f7ffffc, v1
	v_mul_f32_e32 v5, 0x2f800000, v1
	v_trunc_f32_e32 v5, v5
	v_fmac_f32_e32 v1, 0xcf800000, v5
	v_cvt_u32_f32_e32 v5, v5
	v_cvt_u32_f32_e32 v1, v1
	v_mul_lo_u32 v8, s2, v5
	v_mul_hi_u32 v10, s2, v1
	v_mul_lo_u32 v9, s3, v1
	v_add_u32_e32 v10, v10, v8
	v_mul_lo_u32 v12, s2, v1
	v_add_u32_e32 v13, v10, v9
	v_mul_hi_u32 v8, v1, v12
	v_mul_hi_u32 v11, v1, v13
	v_mul_lo_u32 v10, v1, v13
	v_mov_b32_e32 v9, v4
	v_lshl_add_u64 v[8:9], v[8:9], 0, v[10:11]
	v_mul_hi_u32 v11, v5, v12
	v_mul_lo_u32 v12, v5, v12
	v_add_co_u32_e32 v8, vcc, v8, v12
	v_mul_hi_u32 v10, v5, v13
	s_nop 0
	v_addc_co_u32_e32 v8, vcc, v9, v11, vcc
	v_mov_b32_e32 v9, v4
	s_nop 0
	v_addc_co_u32_e32 v11, vcc, 0, v10, vcc
	v_mul_lo_u32 v10, v5, v13
	v_lshl_add_u64 v[8:9], v[8:9], 0, v[10:11]
	v_add_co_u32_e32 v1, vcc, v1, v8
	v_mul_lo_u32 v10, s2, v1
	s_nop 0
	v_addc_co_u32_e32 v5, vcc, v5, v9, vcc
	v_mul_lo_u32 v8, s2, v5
	v_mul_hi_u32 v9, s2, v1
	v_add_u32_e32 v8, v9, v8
	v_mul_lo_u32 v9, s3, v1
	v_add_u32_e32 v12, v8, v9
	v_mul_hi_u32 v14, v5, v10
	v_mul_lo_u32 v15, v5, v10
	v_mul_hi_u32 v9, v1, v12
	v_mul_lo_u32 v8, v1, v12
	v_mul_hi_u32 v10, v1, v10
	v_mov_b32_e32 v11, v4
	v_lshl_add_u64 v[8:9], v[10:11], 0, v[8:9]
	v_add_co_u32_e32 v8, vcc, v8, v15
	v_mul_hi_u32 v13, v5, v12
	s_nop 0
	v_addc_co_u32_e32 v8, vcc, v9, v14, vcc
	v_mul_lo_u32 v10, v5, v12
	s_nop 0
	v_addc_co_u32_e32 v11, vcc, 0, v13, vcc
	v_mov_b32_e32 v9, v4
	v_lshl_add_u64 v[8:9], v[8:9], 0, v[10:11]
	v_add_co_u32_e32 v1, vcc, v1, v8
	v_mul_hi_u32 v10, v6, v1
	s_nop 0
	v_addc_co_u32_e32 v5, vcc, v5, v9, vcc
	v_mad_u64_u32 v[8:9], s[2:3], v6, v5, 0
	v_mov_b32_e32 v11, v4
	v_lshl_add_u64 v[8:9], v[10:11], 0, v[8:9]
	v_mad_u64_u32 v[12:13], s[2:3], v7, v1, 0
	v_add_co_u32_e32 v1, vcc, v8, v12
	v_mad_u64_u32 v[10:11], s[2:3], v7, v5, 0
	s_nop 0
	v_addc_co_u32_e32 v8, vcc, v9, v13, vcc
	v_mov_b32_e32 v9, v4
	s_nop 0
	v_addc_co_u32_e32 v11, vcc, 0, v11, vcc
	v_lshl_add_u64 v[8:9], v[8:9], 0, v[10:11]
	v_mul_lo_u32 v1, s25, v8
	v_mul_lo_u32 v5, s24, v9
	v_mad_u64_u32 v[10:11], s[2:3], s24, v8, 0
	v_add3_u32 v1, v11, v5, v1
	v_sub_u32_e32 v5, v7, v1
	v_mov_b32_e32 v11, s25
	v_sub_co_u32_e32 v14, vcc, v6, v10
	v_lshl_add_u64 v[12:13], v[8:9], 0, 1
	s_nop 0
	v_subb_co_u32_e64 v5, s[2:3], v5, v11, vcc
	v_subrev_co_u32_e64 v10, s[2:3], s24, v14
	v_subb_co_u32_e32 v1, vcc, v7, v1, vcc
	s_nop 0
	v_subbrev_co_u32_e64 v5, s[2:3], 0, v5, s[2:3]
	v_cmp_le_u32_e64 s[2:3], s25, v5
	v_cmp_le_u32_e32 vcc, s25, v1
	s_nop 0
	v_cndmask_b32_e64 v11, 0, -1, s[2:3]
	v_cmp_le_u32_e64 s[2:3], s24, v10
	s_nop 1
	v_cndmask_b32_e64 v10, 0, -1, s[2:3]
	v_cmp_eq_u32_e64 s[2:3], s25, v5
	s_nop 1
	v_cndmask_b32_e64 v5, v11, v10, s[2:3]
	v_lshl_add_u64 v[10:11], v[8:9], 0, 2
	v_cmp_ne_u32_e64 s[2:3], 0, v5
	s_nop 1
	v_cndmask_b32_e64 v5, v13, v11, s[2:3]
	v_cndmask_b32_e64 v11, 0, -1, vcc
	v_cmp_le_u32_e32 vcc, s24, v14
	s_nop 1
	v_cndmask_b32_e64 v13, 0, -1, vcc
	v_cmp_eq_u32_e32 vcc, s25, v1
	s_nop 1
	v_cndmask_b32_e32 v1, v11, v13, vcc
	v_cmp_ne_u32_e32 vcc, 0, v1
	v_cndmask_b32_e64 v1, v12, v10, s[2:3]
	s_nop 0
	v_cndmask_b32_e32 v37, v9, v5, vcc
	v_cndmask_b32_e32 v36, v8, v1, vcc
.LBB0_4:                                ;   in Loop: Header=BB0_2 Depth=1
	s_andn2_saveexec_b64 s[2:3], s[26:27]
	s_cbranch_execz .LBB0_6
; %bb.5:                                ;   in Loop: Header=BB0_2 Depth=1
	v_cvt_f32_u32_e32 v1, s24
	s_sub_i32 s26, 0, s24
	v_mov_b32_e32 v37, v4
	v_rcp_iflag_f32_e32 v1, v1
	s_nop 0
	v_mul_f32_e32 v1, 0x4f7ffffe, v1
	v_cvt_u32_f32_e32 v1, v1
	v_mul_lo_u32 v5, s26, v1
	v_mul_hi_u32 v5, v1, v5
	v_add_u32_e32 v1, v1, v5
	v_mul_hi_u32 v1, v6, v1
	v_mul_lo_u32 v5, v1, s24
	v_sub_u32_e32 v5, v6, v5
	v_add_u32_e32 v8, 1, v1
	v_subrev_u32_e32 v9, s24, v5
	v_cmp_le_u32_e32 vcc, s24, v5
	s_nop 1
	v_cndmask_b32_e32 v5, v5, v9, vcc
	v_cndmask_b32_e32 v1, v1, v8, vcc
	v_add_u32_e32 v8, 1, v1
	v_cmp_le_u32_e32 vcc, s24, v5
	s_nop 1
	v_cndmask_b32_e32 v36, v1, v8, vcc
.LBB0_6:                                ;   in Loop: Header=BB0_2 Depth=1
	s_or_b64 exec, exec, s[2:3]
	v_mad_u64_u32 v[8:9], s[2:3], v36, s24, 0
	s_load_dwordx2 s[2:3], s[18:19], 0x0
	v_mul_lo_u32 v1, v37, s24
	v_mul_lo_u32 v5, v36, s25
	s_load_dwordx2 s[24:25], s[16:17], 0x0
	s_add_u32 s22, s22, 1
	v_add3_u32 v1, v9, v5, v1
	v_sub_co_u32_e32 v5, vcc, v6, v8
	s_addc_u32 s23, s23, 0
	s_nop 0
	v_subb_co_u32_e32 v1, vcc, v7, v1, vcc
	s_add_u32 s16, s16, 8
	s_waitcnt lgkmcnt(0)
	v_mul_lo_u32 v6, s2, v1
	v_mul_lo_u32 v7, s3, v5
	v_mad_u64_u32 v[2:3], s[2:3], s2, v5, v[2:3]
	s_addc_u32 s17, s17, 0
	v_add3_u32 v3, v7, v3, v6
	v_mul_lo_u32 v1, s24, v1
	v_mul_lo_u32 v6, s25, v5
	v_mad_u64_u32 v[34:35], s[2:3], s24, v5, v[34:35]
	s_add_u32 s18, s18, 8
	v_add3_u32 v35, v6, v35, v1
	s_addc_u32 s19, s19, 0
	v_mov_b64_e32 v[6:7], s[10:11]
	s_add_u32 s20, s20, 8
	v_cmp_ge_u64_e32 vcc, s[22:23], v[6:7]
	s_addc_u32 s21, s21, 0
	s_cbranch_vccnz .LBB0_9
; %bb.7:                                ;   in Loop: Header=BB0_2 Depth=1
	v_mov_b64_e32 v[6:7], v[36:37]
	s_branch .LBB0_2
.LBB0_8:
	v_mov_b64_e32 v[34:35], v[2:3]
	v_mov_b64_e32 v[36:37], v[6:7]
.LBB0_9:
	s_load_dwordx2 s[2:3], s[0:1], 0x28
	s_lshl_b64 s[16:17], s[10:11], 3
	s_add_u32 s14, s14, s16
	v_and_b32_e32 v1, 64, v0
	s_addc_u32 s15, s15, s17
	v_cmp_ne_u32_e32 vcc, 0, v1
	v_mov_b32_e32 v1, 0x1c1
	s_waitcnt lgkmcnt(0)
	v_cmp_gt_u64_e64 s[0:1], s[2:3], v[36:37]
	v_cmp_le_u64_e64 s[2:3], s[2:3], v[36:37]
	v_and_b32_e32 v38, 63, v0
	s_and_saveexec_b64 s[10:11], s[2:3]
	s_xor_b64 s[2:3], exec, s[10:11]
; %bb.10:
	v_and_b32_e32 v38, 63, v0
                                        ; implicit-def: $vgpr2_vgpr3
; %bb.11:
	s_or_saveexec_b64 s[10:11], s[2:3]
	s_load_dwordx2 s[2:3], s[14:15], 0x0
	v_cndmask_b32_e32 v12, 0, v1, vcc
	v_lshlrev_b32_e32 v53, 4, v12
	s_xor_b64 exec, exec, s[10:11]
	s_cbranch_execz .LBB0_15
; %bb.12:
	s_add_u32 s12, s12, s16
	s_addc_u32 s13, s13, s17
	s_load_dwordx2 s[12:13], s[12:13], 0x0
	v_lshlrev_b32_e32 v30, 4, v38
	v_mov_b32_e32 v31, 0
	v_cmp_eq_u32_e32 vcc, 63, v38
	s_waitcnt lgkmcnt(0)
	v_mul_lo_u32 v1, s13, v36
	v_mul_lo_u32 v6, s12, v37
	v_mad_u64_u32 v[4:5], s[12:13], s12, v36, 0
	v_add3_u32 v5, v5, v6, v1
	v_lshl_add_u64 v[4:5], v[4:5], 4, s[4:5]
	v_lshl_add_u64 v[2:3], v[2:3], 4, v[4:5]
	;; [unrolled: 1-line block ×3, first 2 shown]
	global_load_dwordx4 v[4:7], v[22:23], off
	global_load_dwordx4 v[8:11], v[22:23], off offset:1024
	global_load_dwordx4 v[14:17], v[22:23], off offset:2048
	;; [unrolled: 1-line block ×3, first 2 shown]
	v_or_b32_e32 v22, 0x1000, v30
	v_mov_b32_e32 v23, v31
	v_lshl_add_u64 v[32:33], v[2:3], 0, v[22:23]
	v_or_b32_e32 v22, 0x1400, v30
	v_lshl_add_u64 v[40:41], v[2:3], 0, v[22:23]
	global_load_dwordx4 v[22:25], v[32:33], off
	global_load_dwordx4 v[26:29], v[40:41], off
	v_add3_u32 v1, 0, v53, v30
	v_or_b32_e32 v30, 0x1800, v30
	v_lshl_add_u64 v[30:31], v[2:3], 0, v[30:31]
	global_load_dwordx4 v[30:33], v[30:31], off
	s_waitcnt vmcnt(6)
	ds_write_b128 v1, v[4:7]
	s_waitcnt vmcnt(5)
	ds_write_b128 v1, v[8:11] offset:1024
	s_waitcnt vmcnt(4)
	ds_write_b128 v1, v[14:17] offset:2048
	;; [unrolled: 2-line block ×6, first 2 shown]
	s_and_saveexec_b64 s[4:5], vcc
	s_cbranch_execz .LBB0_14
; %bb.13:
	v_add_co_u32_e32 v2, vcc, 0x1000, v2
	v_mov_b32_e32 v38, 63
	s_nop 0
	v_addc_co_u32_e32 v3, vcc, 0, v3, vcc
	global_load_dwordx4 v[2:5], v[2:3], off offset:3072
	s_waitcnt vmcnt(0)
	ds_write_b128 v1, v[2:5] offset:6160
.LBB0_14:
	s_or_b64 exec, exec, s[4:5]
.LBB0_15:
	s_or_b64 exec, exec, s[10:11]
	v_lshl_add_u32 v1, v12, 4, 0
	v_lshlrev_b32_e32 v2, 4, v38
	v_add_u32_e32 v52, v1, v2
	s_waitcnt lgkmcnt(0)
	s_barrier
	v_sub_u32_e32 v13, v1, v2
	ds_read_b64 v[8:9], v52
	ds_read_b64 v[10:11], v13 offset:7168
	s_add_u32 s4, s8, 0x1b80
	s_addc_u32 s5, s9, 0
	v_cmp_ne_u32_e32 vcc, 0, v38
                                        ; implicit-def: $vgpr6_vgpr7
	s_waitcnt lgkmcnt(0)
	v_add_f64 v[2:3], v[8:9], v[10:11]
	v_add_f64 v[4:5], v[8:9], -v[10:11]
	s_and_saveexec_b64 s[10:11], vcc
	s_xor_b64 s[10:11], exec, s[10:11]
	s_cbranch_execz .LBB0_17
; %bb.16:
	v_mov_b32_e32 v39, 0
	v_lshl_add_u64 v[2:3], v[38:39], 4, s[4:5]
	global_load_dwordx4 v[14:17], v[2:3], off
	ds_read_b64 v[2:3], v13 offset:7176
	ds_read_b64 v[4:5], v52 offset:8
	v_add_f64 v[6:7], v[8:9], v[10:11]
	v_add_f64 v[10:11], v[8:9], -v[10:11]
	s_waitcnt lgkmcnt(0)
	v_add_f64 v[18:19], v[2:3], v[4:5]
	v_add_f64 v[2:3], v[4:5], -v[2:3]
	s_waitcnt vmcnt(0)
	v_fma_f64 v[20:21], v[10:11], v[16:17], v[6:7]
	v_fma_f64 v[6:7], -v[10:11], v[16:17], v[6:7]
	v_fma_f64 v[8:9], v[18:19], v[16:17], -v[2:3]
	v_fma_f64 v[4:5], v[18:19], v[16:17], v[2:3]
	v_fmac_f64_e32 v[6:7], v[18:19], v[14:15]
	v_fmac_f64_e32 v[8:9], v[10:11], v[14:15]
	v_fma_f64 v[2:3], -v[18:19], v[14:15], v[20:21]
	v_fmac_f64_e32 v[4:5], v[10:11], v[14:15]
	ds_write_b128 v13, v[6:9] offset:7168
	v_mov_b64_e32 v[6:7], v[38:39]
.LBB0_17:
	s_andn2_saveexec_b64 s[10:11], s[10:11]
	s_cbranch_execz .LBB0_19
; %bb.18:
	ds_read_b128 v[6:9], v1 offset:3584
	s_waitcnt lgkmcnt(0)
	v_add_f64 v[6:7], v[6:7], v[6:7]
	v_mul_f64 v[8:9], v[8:9], -2.0
	ds_write_b128 v1, v[6:9] offset:3584
	v_mov_b64_e32 v[6:7], 0
.LBB0_19:
	s_or_b64 exec, exec, s[10:11]
	v_lshl_add_u64 v[6:7], v[6:7], 4, s[4:5]
	global_load_dwordx4 v[8:11], v[6:7], off offset:1024
	global_load_dwordx4 v[14:17], v[6:7], off offset:2048
	ds_write_b128 v52, v[2:5]
	ds_read_b128 v[2:5], v52 offset:1024
	ds_read_b128 v[18:21], v13 offset:6144
	s_movk_i32 s4, 0xe0
	s_waitcnt lgkmcnt(0)
	v_add_f64 v[22:23], v[2:3], v[18:19]
	v_add_f64 v[24:25], v[20:21], v[4:5]
	v_add_f64 v[26:27], v[2:3], -v[18:19]
	v_add_f64 v[2:3], v[4:5], -v[20:21]
	s_waitcnt vmcnt(1)
	v_fma_f64 v[28:29], v[26:27], v[10:11], v[22:23]
	v_fma_f64 v[4:5], v[24:25], v[10:11], v[2:3]
	v_fma_f64 v[18:19], -v[26:27], v[10:11], v[22:23]
	v_fma_f64 v[20:21], v[24:25], v[10:11], -v[2:3]
	v_fma_f64 v[2:3], -v[24:25], v[8:9], v[28:29]
	v_fmac_f64_e32 v[4:5], v[26:27], v[8:9]
	v_fmac_f64_e32 v[18:19], v[24:25], v[8:9]
	;; [unrolled: 1-line block ×3, first 2 shown]
	ds_write_b128 v52, v[2:5] offset:1024
	ds_write_b128 v13, v[18:21] offset:6144
	ds_read_b128 v[2:5], v52 offset:2048
	ds_read_b128 v[8:11], v13 offset:5120
	v_or_b32_e32 v26, 0xc0, v38
	v_cmp_gt_u32_e32 vcc, s4, v26
	s_waitcnt lgkmcnt(0)
	v_add_f64 v[18:19], v[2:3], v[8:9]
	v_add_f64 v[20:21], v[10:11], v[4:5]
	v_add_f64 v[22:23], v[2:3], -v[8:9]
	v_add_f64 v[2:3], v[4:5], -v[10:11]
	s_waitcnt vmcnt(0)
	v_fma_f64 v[24:25], v[22:23], v[16:17], v[18:19]
	v_fma_f64 v[4:5], v[20:21], v[16:17], v[2:3]
	v_fma_f64 v[8:9], -v[22:23], v[16:17], v[18:19]
	v_fma_f64 v[10:11], v[20:21], v[16:17], -v[2:3]
	v_fma_f64 v[2:3], -v[20:21], v[14:15], v[24:25]
	v_fmac_f64_e32 v[4:5], v[22:23], v[14:15]
	v_fmac_f64_e32 v[8:9], v[20:21], v[14:15]
	;; [unrolled: 1-line block ×3, first 2 shown]
	ds_write_b128 v52, v[2:5] offset:2048
	ds_write_b128 v13, v[8:11] offset:5120
	s_and_saveexec_b64 s[4:5], vcc
	s_cbranch_execz .LBB0_21
; %bb.20:
	global_load_dwordx4 v[2:5], v[6:7], off offset:3072
	ds_read_b128 v[6:9], v52 offset:3072
	ds_read_b128 v[14:17], v13 offset:4096
	s_waitcnt lgkmcnt(0)
	v_add_f64 v[10:11], v[6:7], v[14:15]
	v_add_f64 v[18:19], v[16:17], v[8:9]
	v_add_f64 v[14:15], v[6:7], -v[14:15]
	v_add_f64 v[16:17], v[8:9], -v[16:17]
	s_waitcnt vmcnt(0)
	v_fma_f64 v[20:21], v[14:15], v[4:5], v[10:11]
	v_fma_f64 v[6:7], v[18:19], v[4:5], v[16:17]
	v_fma_f64 v[8:9], -v[14:15], v[4:5], v[10:11]
	v_fma_f64 v[10:11], v[18:19], v[4:5], -v[16:17]
	v_fma_f64 v[4:5], -v[18:19], v[2:3], v[20:21]
	v_fmac_f64_e32 v[6:7], v[14:15], v[2:3]
	v_fmac_f64_e32 v[8:9], v[18:19], v[2:3]
	;; [unrolled: 1-line block ×3, first 2 shown]
	ds_write_b128 v52, v[4:7] offset:3072
	ds_write_b128 v13, v[8:11] offset:4096
.LBB0_21:
	s_or_b64 exec, exec, s[4:5]
	v_lshl_add_u32 v54, v38, 4, 0
	s_waitcnt lgkmcnt(0)
	s_barrier
	s_barrier
	v_lshl_add_u32 v39, v12, 4, v54
	ds_read_b128 v[10:13], v52
	ds_read_b128 v[6:9], v39 offset:896
	ds_read_b128 v[2:5], v39 offset:3584
	;; [unrolled: 1-line block ×7, first 2 shown]
	s_waitcnt lgkmcnt(5)
	v_add_f64 v[22:23], v[10:11], -v[2:3]
	v_add_f64 v[26:27], v[12:13], -v[4:5]
	s_waitcnt lgkmcnt(2)
	v_add_f64 v[44:45], v[18:19], -v[28:29]
	v_add_f64 v[48:49], v[20:21], -v[30:31]
	;; [unrolled: 3-line block ×4, first 2 shown]
	s_mov_b32 s12, 0x667f3bcd
	v_add_f64 v[24:25], v[22:23], -v[48:49]
	v_add_f64 v[40:41], v[26:27], v[44:45]
	v_add_f64 v[32:33], v[28:29], -v[46:47]
	v_add_f64 v[42:43], v[30:31], v[50:51]
	s_mov_b32 s13, 0x3fe6a09e
	v_fma_f64 v[2:3], s[12:13], v[32:33], v[24:25]
	v_fma_f64 v[4:5], s[12:13], v[42:43], v[40:41]
	s_mov_b32 s11, 0xbfe6a09e
	s_mov_b32 s10, s12
	v_fmac_f64_e32 v[2:3], s[10:11], v[42:43]
	v_fmac_f64_e32 v[4:5], s[12:13], v[32:33]
	v_cmp_gt_u32_e32 vcc, 56, v38
	s_barrier
	s_and_saveexec_b64 s[4:5], vcc
	s_cbranch_execz .LBB0_23
; %bb.22:
	v_fma_f64 v[60:61], v[12:13], 2.0, -v[26:27]
	v_fma_f64 v[12:13], v[20:21], 2.0, -v[48:49]
	;; [unrolled: 1-line block ×4, first 2 shown]
	v_add_f64 v[14:15], v[48:49], -v[6:7]
	v_fma_f64 v[6:7], v[18:19], 2.0, -v[44:45]
	v_fma_f64 v[44:45], v[10:11], 2.0, -v[22:23]
	v_add_f64 v[50:51], v[44:45], -v[6:7]
	v_fma_f64 v[62:63], v[8:9], 2.0, -v[30:31]
	v_fma_f64 v[6:7], v[16:17], 2.0, -v[46:47]
	;; [unrolled: 3-line block ×3, first 2 shown]
	v_fma_f64 v[8:9], s[10:11], v[30:31], v[6:7]
	v_fma_f64 v[28:29], v[28:29], 2.0, -v[32:33]
	v_fmac_f64_e32 v[8:9], s[12:13], v[28:29]
	v_fma_f64 v[22:23], v[22:23], 2.0, -v[24:25]
	v_add_f64 v[20:21], v[60:61], -v[12:13]
	v_fma_f64 v[26:27], v[6:7], 2.0, -v[8:9]
	v_fma_f64 v[6:7], s[10:11], v[28:29], v[22:23]
	v_add_f64 v[12:13], v[20:21], v[14:15]
	v_fmac_f64_e32 v[6:7], s[10:11], v[30:31]
	v_fma_f64 v[56:57], v[24:25], 2.0, -v[2:3]
	v_fma_f64 v[18:19], v[20:21], 2.0, -v[12:13]
	;; [unrolled: 1-line block ×5, first 2 shown]
	v_add_f64 v[22:23], v[20:21], -v[22:23]
	v_fma_f64 v[28:29], v[44:45], 2.0, -v[50:51]
	v_fma_f64 v[14:15], v[48:49], 2.0, -v[14:15]
	v_fma_f64 v[30:31], v[20:21], 2.0, -v[22:23]
	v_add_f64 v[20:21], v[28:29], -v[14:15]
	v_mul_u32_u24_e32 v14, 0x70, v38
	v_add_f64 v[10:11], v[50:51], -v[46:47]
	v_fma_f64 v[28:29], v[28:29], 2.0, -v[20:21]
	v_add3_u32 v14, v54, v14, v53
	v_fma_f64 v[58:59], v[40:41], 2.0, -v[4:5]
	v_fma_f64 v[16:17], v[50:51], 2.0, -v[10:11]
	ds_write_b128 v14, v[28:31]
	ds_write_b128 v14, v[24:27] offset:16
	ds_write_b128 v14, v[16:19] offset:32
	;; [unrolled: 1-line block ×7, first 2 shown]
.LBB0_23:
	s_or_b64 exec, exec, s[4:5]
	v_and_b32_e32 v0, 7, v0
	v_mul_u32_u24_e32 v6, 6, v0
	v_lshlrev_b32_e32 v30, 4, v6
	s_waitcnt lgkmcnt(0)
	s_barrier
	global_load_dwordx4 v[6:9], v30, s[8:9]
	global_load_dwordx4 v[10:13], v30, s[8:9] offset:16
	global_load_dwordx4 v[14:17], v30, s[8:9] offset:32
	;; [unrolled: 1-line block ×5, first 2 shown]
	ds_read_b128 v[30:33], v39 offset:1024
	ds_read_b128 v[40:43], v52
	ds_read_b128 v[44:47], v39 offset:2048
	ds_read_b128 v[48:51], v39 offset:3072
	s_mov_b32 s12, 0xe976ee23
	s_mov_b32 s13, 0xbfe11646
	;; [unrolled: 1-line block ×6, first 2 shown]
	s_waitcnt vmcnt(5) lgkmcnt(3)
	v_mul_f64 v[54:55], v[32:33], v[8:9]
	v_mul_f64 v[56:57], v[30:31], v[8:9]
	v_fma_f64 v[30:31], v[30:31], v[6:7], -v[54:55]
	v_fmac_f64_e32 v[56:57], v[32:33], v[6:7]
	s_waitcnt vmcnt(4) lgkmcnt(1)
	v_mul_f64 v[32:33], v[46:47], v[12:13]
	v_mul_f64 v[54:55], v[44:45], v[12:13]
	ds_read_b128 v[6:9], v39 offset:4096
	v_fma_f64 v[32:33], v[44:45], v[10:11], -v[32:33]
	v_fmac_f64_e32 v[54:55], v[46:47], v[10:11]
	ds_read_b128 v[10:13], v39 offset:5120
	s_waitcnt vmcnt(3) lgkmcnt(2)
	v_mul_f64 v[44:45], v[50:51], v[16:17]
	v_mul_f64 v[46:47], v[48:49], v[16:17]
	v_fma_f64 v[44:45], v[48:49], v[14:15], -v[44:45]
	v_fmac_f64_e32 v[46:47], v[50:51], v[14:15]
	ds_read_b128 v[14:17], v39 offset:6144
	s_waitcnt vmcnt(2) lgkmcnt(2)
	v_mul_f64 v[48:49], v[8:9], v[20:21]
	v_mul_f64 v[20:21], v[6:7], v[20:21]
	s_waitcnt vmcnt(1) lgkmcnt(1)
	v_mul_f64 v[50:51], v[12:13], v[24:25]
	v_fma_f64 v[6:7], v[6:7], v[18:19], -v[48:49]
	v_fmac_f64_e32 v[20:21], v[8:9], v[18:19]
	v_mul_f64 v[8:9], v[10:11], v[24:25]
	s_waitcnt vmcnt(0) lgkmcnt(0)
	v_mul_f64 v[18:19], v[16:17], v[28:29]
	v_mul_f64 v[24:25], v[14:15], v[28:29]
	v_fma_f64 v[10:11], v[10:11], v[22:23], -v[50:51]
	v_fmac_f64_e32 v[8:9], v[12:13], v[22:23]
	v_fma_f64 v[12:13], v[14:15], v[26:27], -v[18:19]
	v_fmac_f64_e32 v[24:25], v[16:17], v[26:27]
	v_add_f64 v[14:15], v[30:31], v[12:13]
	v_add_f64 v[16:17], v[56:57], v[24:25]
	v_add_f64 v[18:19], v[56:57], -v[24:25]
	v_add_f64 v[22:23], v[32:33], v[10:11]
	v_add_f64 v[24:25], v[54:55], v[8:9]
	v_add_f64 v[10:11], v[32:33], -v[10:11]
	v_add_f64 v[8:9], v[54:55], -v[8:9]
	v_add_f64 v[26:27], v[44:45], v[6:7]
	v_add_f64 v[28:29], v[46:47], v[20:21]
	v_add_f64 v[6:7], v[6:7], -v[44:45]
	v_add_f64 v[20:21], v[20:21], -v[46:47]
	;; [unrolled: 1-line block ×3, first 2 shown]
	v_add_f64 v[30:31], v[22:23], v[14:15]
	v_add_f64 v[32:33], v[24:25], v[16:17]
	;; [unrolled: 1-line block ×4, first 2 shown]
	v_add_f64 v[54:55], v[6:7], -v[10:11]
	v_add_f64 v[56:57], v[20:21], -v[8:9]
	;; [unrolled: 1-line block ×12, first 2 shown]
	v_add_f64 v[26:27], v[26:27], v[30:31]
	v_add_f64 v[28:29], v[28:29], v[32:33]
	;; [unrolled: 1-line block ×4, first 2 shown]
	v_mul_f64 v[48:49], v[54:55], s[12:13]
	v_mul_f64 v[50:51], v[56:57], s[12:13]
	s_mov_b32 s12, 0xaaaaaaaa
	v_add_f64 v[6:7], v[40:41], v[26:27]
	v_add_f64 v[8:9], v[42:43], v[28:29]
	s_mov_b32 s13, 0xbff2aaaa
	v_mul_f64 v[30:31], v[22:23], s[10:11]
	v_mul_f64 v[32:33], v[24:25], s[10:11]
	v_fma_f64 v[26:27], s[12:13], v[26:27], v[6:7]
	v_fma_f64 v[28:29], s[12:13], v[28:29], v[8:9]
	s_mov_b32 s13, 0x3fe77f67
	s_mov_b32 s12, 0x5476071b
	v_mul_f64 v[14:15], v[14:15], s[4:5]
	v_mul_f64 v[16:17], v[16:17], s[4:5]
	s_mov_b32 s4, 0x429ad128
	v_fma_f64 v[30:31], v[44:45], s[12:13], -v[30:31]
	v_fma_f64 v[32:33], v[46:47], s[12:13], -v[32:33]
	s_mov_b32 s13, 0xbfe77f67
	s_mov_b32 s5, 0x3febfeb5
	v_fma_f64 v[22:23], s[10:11], v[22:23], v[14:15]
	v_fma_f64 v[14:15], v[44:45], s[12:13], -v[14:15]
	v_fma_f64 v[44:45], v[46:47], s[12:13], -v[16:17]
	v_fmac_f64_e32 v[16:17], s[10:11], v[24:25]
	s_mov_b32 s11, 0x3fd5d0dc
	s_mov_b32 s10, 0xb247c609
	v_mul_f64 v[40:41], v[10:11], s[4:5]
	v_mul_f64 v[42:43], v[60:61], s[4:5]
	v_fma_f64 v[46:47], s[10:11], v[58:59], v[48:49]
	v_fma_f64 v[48:49], v[10:11], s[4:5], -v[48:49]
	v_fma_f64 v[54:55], v[60:61], s[4:5], -v[50:51]
	v_fmac_f64_e32 v[50:51], s[10:11], v[20:21]
	s_mov_b32 s11, 0xbfd5d0dc
	s_mov_b32 s4, 0x37c3f68c
	v_fma_f64 v[40:41], v[58:59], s[10:11], -v[40:41]
	s_mov_b32 s5, 0x3fdc38aa
	v_fma_f64 v[42:43], v[20:21], s[10:11], -v[42:43]
	v_add_f64 v[58:59], v[16:17], v[28:29]
	v_add_f64 v[20:21], v[30:31], v[26:27]
	;; [unrolled: 1-line block ×4, first 2 shown]
	v_fmac_f64_e32 v[40:41], s[4:5], v[12:13]
	v_fmac_f64_e32 v[46:47], s[4:5], v[12:13]
	v_fmac_f64_e32 v[48:49], s[4:5], v[12:13]
	v_add_f64 v[12:13], v[28:29], -v[40:41]
	v_add_f64 v[32:33], v[40:41], v[28:29]
	v_lshrrev_b32_e32 v40, 3, v38
	v_mul_u32_u24_e32 v40, 56, v40
	v_or_b32_e32 v0, v40, v0
	v_add_f64 v[56:57], v[22:23], v[26:27]
	v_add_f64 v[26:27], v[14:15], v[26:27]
	v_fmac_f64_e32 v[50:51], s[4:5], v[18:19]
	v_fmac_f64_e32 v[54:55], s[4:5], v[18:19]
	;; [unrolled: 1-line block ×3, first 2 shown]
	v_lshlrev_b32_e32 v0, 4, v0
	v_add_f64 v[14:15], v[50:51], v[56:57]
	v_add_f64 v[16:17], v[58:59], -v[46:47]
	v_add_f64 v[10:11], v[42:43], v[26:27]
	v_add_f64 v[22:23], v[20:21], -v[54:55]
	v_add_f64 v[24:25], v[48:49], v[30:31]
	v_add_f64 v[18:19], v[54:55], v[20:21]
	v_add_f64 v[20:21], v[30:31], -v[48:49]
	v_add_f64 v[30:31], v[26:27], -v[42:43]
	;; [unrolled: 1-line block ×3, first 2 shown]
	v_add_f64 v[28:29], v[46:47], v[58:59]
	v_add3_u32 v0, 0, v0, v53
	s_barrier
	ds_write_b128 v0, v[6:9]
	ds_write_b128 v0, v[14:17] offset:128
	ds_write_b128 v0, v[10:13] offset:256
	ds_write_b128 v0, v[22:25] offset:384
	ds_write_b128 v0, v[18:21] offset:512
	ds_write_b128 v0, v[30:33] offset:640
	ds_write_b128 v0, v[26:29] offset:768
	s_waitcnt lgkmcnt(0)
	s_barrier
	s_and_saveexec_b64 s[4:5], vcc
	s_cbranch_execz .LBB0_25
; %bb.24:
	ds_read_b128 v[6:9], v52
	ds_read_b128 v[14:17], v39 offset:896
	ds_read_b128 v[10:13], v39 offset:1792
	;; [unrolled: 1-line block ×7, first 2 shown]
.LBB0_25:
	s_or_b64 exec, exec, s[4:5]
	s_waitcnt lgkmcnt(0)
	s_barrier
	s_and_saveexec_b64 s[4:5], vcc
	s_cbranch_execz .LBB0_27
; %bb.26:
	v_subrev_u32_e32 v0, 56, v38
	v_cndmask_b32_e32 v0, v0, v38, vcc
	v_mul_i32_i24_e32 v40, 7, v0
	v_mov_b32_e32 v41, 0
	v_lshl_add_u64 v[70:71], v[40:41], 4, s[8:9]
	global_load_dwordx4 v[40:43], v[70:71], off offset:768
	global_load_dwordx4 v[44:47], v[70:71], off offset:784
	;; [unrolled: 1-line block ×7, first 2 shown]
	s_mov_b32 s8, 0x667f3bcd
	s_mov_b32 s9, 0x3fe6a09e
	;; [unrolled: 1-line block ×4, first 2 shown]
	s_waitcnt vmcnt(6)
	v_mul_f64 v[70:71], v[16:17], v[42:43]
	v_mul_f64 v[42:43], v[14:15], v[42:43]
	v_fma_f64 v[14:15], v[14:15], v[40:41], -v[70:71]
	s_waitcnt vmcnt(3)
	v_mul_f64 v[70:71], v[32:33], v[56:57]
	v_mul_f64 v[56:57], v[30:31], v[56:57]
	v_fma_f64 v[30:31], v[30:31], v[54:55], -v[70:71]
	v_fmac_f64_e32 v[56:57], v[32:33], v[54:55]
	s_waitcnt vmcnt(1)
	v_mul_f64 v[54:55], v[22:23], v[64:65]
	v_fmac_f64_e32 v[42:43], v[16:17], v[40:41]
	v_mul_f64 v[16:17], v[12:13], v[46:47]
	v_mul_f64 v[40:41], v[28:29], v[50:51]
	;; [unrolled: 1-line block ×3, first 2 shown]
	s_waitcnt vmcnt(0)
	v_mul_f64 v[70:71], v[2:3], v[68:69]
	v_mul_f64 v[64:65], v[24:25], v[64:65]
	v_fmac_f64_e32 v[54:55], v[24:25], v[62:63]
	v_mul_f64 v[24:25], v[4:5], v[68:69]
	v_mul_f64 v[60:61], v[20:21], v[60:61]
	;; [unrolled: 1-line block ×4, first 2 shown]
	v_fma_f64 v[22:23], v[22:23], v[62:63], -v[64:65]
	v_fma_f64 v[10:11], v[10:11], v[44:45], -v[16:17]
	;; [unrolled: 1-line block ×3, first 2 shown]
	v_fmac_f64_e32 v[32:33], v[20:21], v[58:59]
	v_fmac_f64_e32 v[70:71], v[4:5], v[66:67]
	v_fma_f64 v[2:3], v[2:3], v[66:67], -v[24:25]
	v_fma_f64 v[4:5], v[18:19], v[58:59], -v[60:61]
	v_fmac_f64_e32 v[46:47], v[12:13], v[44:45]
	v_fmac_f64_e32 v[50:51], v[28:29], v[48:49]
	v_add_f64 v[12:13], v[10:11], -v[16:17]
	v_add_f64 v[16:17], v[8:9], -v[32:33]
	;; [unrolled: 1-line block ×8, first 2 shown]
	v_add_f64 v[28:29], v[16:17], v[12:13]
	v_add_f64 v[30:31], v[18:19], -v[20:21]
	v_add_f64 v[32:33], v[24:25], v[2:3]
	v_add_f64 v[40:41], v[26:27], -v[4:5]
	v_fma_f64 v[44:45], v[8:9], 2.0, -v[16:17]
	v_fma_f64 v[8:9], v[46:47], 2.0, -v[4:5]
	;; [unrolled: 1-line block ×8, first 2 shown]
	v_fma_f64 v[4:5], s[8:9], v[32:33], v[28:29]
	v_fma_f64 v[2:3], s[8:9], v[30:31], v[40:41]
	v_add_f64 v[20:21], v[44:45], -v[8:9]
	v_add_f64 v[48:49], v[46:47], -v[14:15]
	;; [unrolled: 1-line block ×3, first 2 shown]
	v_fma_f64 v[56:57], v[18:19], 2.0, -v[30:31]
	v_fma_f64 v[26:27], v[26:27], 2.0, -v[40:41]
	;; [unrolled: 1-line block ×4, first 2 shown]
	v_fmac_f64_e32 v[4:5], s[8:9], v[30:31]
	v_fmac_f64_e32 v[2:3], s[10:11], v[32:33]
	v_fma_f64 v[10:11], s[10:11], v[56:57], v[26:27]
	v_fma_f64 v[30:31], v[44:45], 2.0, -v[20:21]
	v_fma_f64 v[32:33], v[42:43], 2.0, -v[14:15]
	v_add_f64 v[50:51], v[22:23], -v[6:7]
	v_fma_f64 v[12:13], s[10:11], v[24:25], v[54:55]
	v_fmac_f64_e32 v[10:11], s[10:11], v[24:25]
	v_add_f64 v[24:25], v[30:31], -v[32:33]
	v_fma_f64 v[32:33], v[30:31], 2.0, -v[24:25]
	v_fma_f64 v[30:31], v[22:23], 2.0, -v[50:51]
	;; [unrolled: 1-line block ×3, first 2 shown]
	v_add_f64 v[22:23], v[30:31], -v[22:23]
	v_add_f64 v[8:9], v[20:21], v[48:49]
	v_add_f64 v[6:7], v[50:51], -v[14:15]
	v_fmac_f64_e32 v[12:13], s[8:9], v[56:57]
	v_fma_f64 v[30:31], v[30:31], 2.0, -v[22:23]
	v_fma_f64 v[16:17], v[28:29], 2.0, -v[4:5]
	;; [unrolled: 1-line block ×7, first 2 shown]
	ds_write_b128 v52, v[30:33]
	ds_write_b128 v39, v[26:29] offset:896
	ds_write_b128 v39, v[18:21] offset:1792
	;; [unrolled: 1-line block ×7, first 2 shown]
.LBB0_27:
	s_or_b64 exec, exec, s[4:5]
	s_waitcnt lgkmcnt(0)
	s_barrier
	s_and_saveexec_b64 s[4:5], s[0:1]
	s_cbranch_execz .LBB0_29
; %bb.28:
	v_mul_lo_u32 v0, s3, v36
	v_mul_lo_u32 v2, s2, v37
	v_mad_u64_u32 v[4:5], s[0:1], s2, v36, 0
	v_lshl_add_u32 v12, v38, 4, v1
	v_add3_u32 v5, v5, v2, v0
	ds_read_b128 v[0:3], v12
	v_lshl_add_u64 v[4:5], v[4:5], 4, s[6:7]
	v_lshl_add_u64 v[8:9], v[34:35], 4, v[4:5]
	ds_read_b128 v[4:7], v12 offset:1024
	v_mov_b32_e32 v39, 0
	v_lshl_add_u64 v[10:11], v[38:39], 4, v[8:9]
	s_waitcnt lgkmcnt(1)
	global_store_dwordx4 v[10:11], v[0:3], off
	s_nop 1
	v_add_u32_e32 v0, 64, v38
	v_mov_b32_e32 v1, v39
	v_lshl_add_u64 v[0:1], v[0:1], 4, v[8:9]
	s_waitcnt lgkmcnt(0)
	global_store_dwordx4 v[0:1], v[4:7], off
	ds_read_b128 v[0:3], v12 offset:2048
	s_nop 0
	v_add_u32_e32 v4, 0x80, v38
	v_mov_b32_e32 v5, v39
	v_lshl_add_u64 v[10:11], v[4:5], 4, v[8:9]
	ds_read_b128 v[4:7], v12 offset:3072
	s_waitcnt lgkmcnt(1)
	global_store_dwordx4 v[10:11], v[0:3], off
	s_nop 1
	v_add_u32_e32 v0, 0xc0, v38
	v_mov_b32_e32 v1, v39
	v_lshl_add_u64 v[0:1], v[0:1], 4, v[8:9]
	s_waitcnt lgkmcnt(0)
	global_store_dwordx4 v[0:1], v[4:7], off
	ds_read_b128 v[0:3], v12 offset:4096
	s_nop 0
	v_add_u32_e32 v4, 0x100, v38
	v_mov_b32_e32 v5, v39
	v_lshl_add_u64 v[10:11], v[4:5], 4, v[8:9]
	ds_read_b128 v[4:7], v12 offset:5120
	s_waitcnt lgkmcnt(1)
	global_store_dwordx4 v[10:11], v[0:3], off
	ds_read_b128 v[0:3], v12 offset:6144
	v_add_u32_e32 v10, 0x140, v38
	v_mov_b32_e32 v11, v39
	v_lshl_add_u64 v[10:11], v[10:11], 4, v[8:9]
	v_add_u32_e32 v38, 0x180, v38
	s_waitcnt lgkmcnt(1)
	global_store_dwordx4 v[10:11], v[4:7], off
	s_nop 1
	v_lshl_add_u64 v[4:5], v[38:39], 4, v[8:9]
	s_waitcnt lgkmcnt(0)
	global_store_dwordx4 v[4:5], v[0:3], off
.LBB0_29:
	s_endpgm
	.section	.rodata,"a",@progbits
	.p2align	6, 0x0
	.amdhsa_kernel fft_rtc_fwd_len448_factors_8_7_8_wgs_128_tpt_64_dp_op_CI_CI_unitstride_sbrr_C2R_dirReg
		.amdhsa_group_segment_fixed_size 0
		.amdhsa_private_segment_fixed_size 0
		.amdhsa_kernarg_size 104
		.amdhsa_user_sgpr_count 2
		.amdhsa_user_sgpr_dispatch_ptr 0
		.amdhsa_user_sgpr_queue_ptr 0
		.amdhsa_user_sgpr_kernarg_segment_ptr 1
		.amdhsa_user_sgpr_dispatch_id 0
		.amdhsa_user_sgpr_kernarg_preload_length 0
		.amdhsa_user_sgpr_kernarg_preload_offset 0
		.amdhsa_user_sgpr_private_segment_size 0
		.amdhsa_uses_dynamic_stack 0
		.amdhsa_enable_private_segment 0
		.amdhsa_system_sgpr_workgroup_id_x 1
		.amdhsa_system_sgpr_workgroup_id_y 0
		.amdhsa_system_sgpr_workgroup_id_z 0
		.amdhsa_system_sgpr_workgroup_info 0
		.amdhsa_system_vgpr_workitem_id 0
		.amdhsa_next_free_vgpr 72
		.amdhsa_next_free_sgpr 28
		.amdhsa_accum_offset 72
		.amdhsa_reserve_vcc 1
		.amdhsa_float_round_mode_32 0
		.amdhsa_float_round_mode_16_64 0
		.amdhsa_float_denorm_mode_32 3
		.amdhsa_float_denorm_mode_16_64 3
		.amdhsa_dx10_clamp 1
		.amdhsa_ieee_mode 1
		.amdhsa_fp16_overflow 0
		.amdhsa_tg_split 0
		.amdhsa_exception_fp_ieee_invalid_op 0
		.amdhsa_exception_fp_denorm_src 0
		.amdhsa_exception_fp_ieee_div_zero 0
		.amdhsa_exception_fp_ieee_overflow 0
		.amdhsa_exception_fp_ieee_underflow 0
		.amdhsa_exception_fp_ieee_inexact 0
		.amdhsa_exception_int_div_zero 0
	.end_amdhsa_kernel
	.text
.Lfunc_end0:
	.size	fft_rtc_fwd_len448_factors_8_7_8_wgs_128_tpt_64_dp_op_CI_CI_unitstride_sbrr_C2R_dirReg, .Lfunc_end0-fft_rtc_fwd_len448_factors_8_7_8_wgs_128_tpt_64_dp_op_CI_CI_unitstride_sbrr_C2R_dirReg
                                        ; -- End function
	.section	.AMDGPU.csdata,"",@progbits
; Kernel info:
; codeLenInByte = 5352
; NumSgprs: 34
; NumVgprs: 72
; NumAgprs: 0
; TotalNumVgprs: 72
; ScratchSize: 0
; MemoryBound: 0
; FloatMode: 240
; IeeeMode: 1
; LDSByteSize: 0 bytes/workgroup (compile time only)
; SGPRBlocks: 4
; VGPRBlocks: 8
; NumSGPRsForWavesPerEU: 34
; NumVGPRsForWavesPerEU: 72
; AccumOffset: 72
; Occupancy: 7
; WaveLimiterHint : 1
; COMPUTE_PGM_RSRC2:SCRATCH_EN: 0
; COMPUTE_PGM_RSRC2:USER_SGPR: 2
; COMPUTE_PGM_RSRC2:TRAP_HANDLER: 0
; COMPUTE_PGM_RSRC2:TGID_X_EN: 1
; COMPUTE_PGM_RSRC2:TGID_Y_EN: 0
; COMPUTE_PGM_RSRC2:TGID_Z_EN: 0
; COMPUTE_PGM_RSRC2:TIDIG_COMP_CNT: 0
; COMPUTE_PGM_RSRC3_GFX90A:ACCUM_OFFSET: 17
; COMPUTE_PGM_RSRC3_GFX90A:TG_SPLIT: 0
	.text
	.p2alignl 6, 3212836864
	.fill 256, 4, 3212836864
	.type	__hip_cuid_e196eeb510dd0448,@object ; @__hip_cuid_e196eeb510dd0448
	.section	.bss,"aw",@nobits
	.globl	__hip_cuid_e196eeb510dd0448
__hip_cuid_e196eeb510dd0448:
	.byte	0                               ; 0x0
	.size	__hip_cuid_e196eeb510dd0448, 1

	.ident	"AMD clang version 19.0.0git (https://github.com/RadeonOpenCompute/llvm-project roc-6.4.0 25133 c7fe45cf4b819c5991fe208aaa96edf142730f1d)"
	.section	".note.GNU-stack","",@progbits
	.addrsig
	.addrsig_sym __hip_cuid_e196eeb510dd0448
	.amdgpu_metadata
---
amdhsa.kernels:
  - .agpr_count:     0
    .args:
      - .actual_access:  read_only
        .address_space:  global
        .offset:         0
        .size:           8
        .value_kind:     global_buffer
      - .offset:         8
        .size:           8
        .value_kind:     by_value
      - .actual_access:  read_only
        .address_space:  global
        .offset:         16
        .size:           8
        .value_kind:     global_buffer
      - .actual_access:  read_only
        .address_space:  global
        .offset:         24
        .size:           8
        .value_kind:     global_buffer
      - .actual_access:  read_only
        .address_space:  global
        .offset:         32
        .size:           8
        .value_kind:     global_buffer
      - .offset:         40
        .size:           8
        .value_kind:     by_value
      - .actual_access:  read_only
        .address_space:  global
        .offset:         48
        .size:           8
        .value_kind:     global_buffer
      - .actual_access:  read_only
        .address_space:  global
        .offset:         56
        .size:           8
        .value_kind:     global_buffer
      - .offset:         64
        .size:           4
        .value_kind:     by_value
      - .actual_access:  read_only
        .address_space:  global
        .offset:         72
        .size:           8
        .value_kind:     global_buffer
      - .actual_access:  read_only
        .address_space:  global
        .offset:         80
        .size:           8
        .value_kind:     global_buffer
      - .actual_access:  read_only
        .address_space:  global
        .offset:         88
        .size:           8
        .value_kind:     global_buffer
      - .actual_access:  write_only
        .address_space:  global
        .offset:         96
        .size:           8
        .value_kind:     global_buffer
    .group_segment_fixed_size: 0
    .kernarg_segment_align: 8
    .kernarg_segment_size: 104
    .language:       OpenCL C
    .language_version:
      - 2
      - 0
    .max_flat_workgroup_size: 128
    .name:           fft_rtc_fwd_len448_factors_8_7_8_wgs_128_tpt_64_dp_op_CI_CI_unitstride_sbrr_C2R_dirReg
    .private_segment_fixed_size: 0
    .sgpr_count:     34
    .sgpr_spill_count: 0
    .symbol:         fft_rtc_fwd_len448_factors_8_7_8_wgs_128_tpt_64_dp_op_CI_CI_unitstride_sbrr_C2R_dirReg.kd
    .uniform_work_group_size: 1
    .uses_dynamic_stack: false
    .vgpr_count:     72
    .vgpr_spill_count: 0
    .wavefront_size: 64
amdhsa.target:   amdgcn-amd-amdhsa--gfx950
amdhsa.version:
  - 1
  - 2
...

	.end_amdgpu_metadata
